;; amdgpu-corpus repo=zjin-lcf/HeCBench kind=compiled arch=gfx906 opt=O3
	.amdgcn_target "amdgcn-amd-amdhsa--gfx906"
	.amdhsa_code_object_version 6
	.text
	.protected	_Z15sobolGPU_kerneljjPjPf ; -- Begin function _Z15sobolGPU_kerneljjPjPf
	.globl	_Z15sobolGPU_kerneljjPjPf
	.p2align	8
	.type	_Z15sobolGPU_kerneljjPjPf,@function
_Z15sobolGPU_kerneljjPjPf:              ; @_Z15sobolGPU_kerneljjPjPf
; %bb.0:
	v_cmp_gt_u32_e32 vcc, 32, v0
	s_and_saveexec_b64 s[0:1], vcc
	s_cbranch_execz .LBB0_2
; %bb.1:
	s_load_dwordx2 s[2:3], s[4:5], 0x8
	s_lshl_b32 s8, s7, 5
	s_mov_b32 s9, 0
	s_lshl_b64 s[8:9], s[8:9], 2
	v_lshlrev_b32_e32 v1, 2, v0
	s_waitcnt lgkmcnt(0)
	s_add_u32 s2, s2, s8
	s_addc_u32 s3, s3, s9
	global_load_dword v2, v1, s[2:3]
	s_waitcnt vmcnt(0)
	ds_write_b32 v1, v2
.LBB0_2:
	s_or_b64 exec, exec, s[0:1]
	s_waitcnt lgkmcnt(0)
	s_barrier
	s_load_dword s3, s[4:5], 0x24
	s_load_dword s2, s[4:5], 0x18
	s_load_dwordx2 s[0:1], s[4:5], 0x10
	s_mov_b32 s11, 0
	s_waitcnt lgkmcnt(0)
	s_and_b32 s3, s3, 0xffff
	s_mul_i32 s9, s2, s3
	s_ff1_i32_b32 s10, s9
	s_add_i32 s10, s10, 1
	s_cmp_lg_u32 s9, 0
	s_cselect_b32 s10, s10, 0
	s_mul_i32 s8, s6, s3
	s_add_i32 s12, s10, -1
	v_add_u32_e32 v1, s8, v0
	s_cmp_eq_u32 s12, 0
	s_cbranch_scc1 .LBB0_7
; %bb.3:
	v_ashrrev_i32_e32 v2, 1, v1
	s_add_i32 s13, s10, -2
	s_cmp_lt_u32 s13, 7
	v_xor_b32_e32 v2, v2, v1
	s_cbranch_scc1 .LBB0_8
; %bb.4:
	s_and_b32 s11, s12, -8
	s_mov_b32 s13, 0
	v_mov_b32_e32 v3, 0
	s_mov_b32 s14, 0
.LBB0_5:                                ; =>This Inner Loop Header: Depth=1
	v_mov_b32_e32 v12, v2
	v_mov_b32_e32 v2, s13
	ds_read_b128 v[4:7], v2
	ds_read_b128 v[8:11], v2 offset:16
	v_bfe_i32 v13, v12, 0, 1
	v_bfe_i32 v14, v12, 1, 1
	;; [unrolled: 1-line block ×3, first 2 shown]
	s_waitcnt lgkmcnt(1)
	v_and_b32_e32 v4, v13, v4
	v_and_b32_e32 v5, v14, v5
	v_xor_b32_e32 v3, v4, v3
	v_bfe_i32 v16, v12, 3, 1
	v_and_b32_e32 v6, v15, v6
	v_xor_b32_e32 v3, v5, v3
	v_bfe_i32 v17, v12, 4, 1
	v_and_b32_e32 v7, v16, v7
	v_xor_b32_e32 v3, v6, v3
	v_bfe_i32 v18, v12, 5, 1
	s_waitcnt lgkmcnt(0)
	v_and_b32_e32 v8, v17, v8
	v_xor_b32_e32 v3, v7, v3
	v_bfe_i32 v19, v12, 6, 1
	v_and_b32_e32 v9, v18, v9
	v_xor_b32_e32 v3, v8, v3
	v_lshrrev_b32_e32 v2, 8, v12
	v_bfe_i32 v12, v12, 7, 1
	v_and_b32_e32 v10, v19, v10
	v_xor_b32_e32 v3, v9, v3
	s_add_i32 s14, s14, 8
	s_add_i32 s13, s13, 32
	v_and_b32_e32 v11, v12, v11
	v_xor_b32_e32 v3, v10, v3
	s_cmp_eq_u32 s11, s14
	v_xor_b32_e32 v3, v11, v3
	s_cbranch_scc0 .LBB0_5
; %bb.6:
	s_and_b32 s12, s12, 7
	s_cmp_eq_u32 s12, 0
	s_cbranch_scc0 .LBB0_9
	s_branch .LBB0_11
.LBB0_7:
	v_mov_b32_e32 v3, 0
	s_branch .LBB0_11
.LBB0_8:
	v_mov_b32_e32 v3, 0
	s_and_b32 s12, s12, 7
	s_cmp_eq_u32 s12, 0
	s_cbranch_scc1 .LBB0_11
.LBB0_9:
	s_lshl_b32 s11, s11, 2
.LBB0_10:                               ; =>This Inner Loop Header: Depth=1
	v_mov_b32_e32 v5, s11
	ds_read_b32 v5, v5
	v_bfe_i32 v4, v2, 0, 1
	s_add_i32 s11, s11, 4
	s_add_i32 s12, s12, -1
	v_lshrrev_b32_e32 v2, 1, v2
	s_waitcnt lgkmcnt(0)
	v_and_b32_e32 v4, v4, v5
	s_cmp_lg_u32 s12, 0
	v_xor_b32_e32 v3, v4, v3
	s_cbranch_scc1 .LBB0_10
.LBB0_11:
	s_load_dword s4, s[4:5], 0x0
	s_mov_b32 s13, 0
	s_waitcnt lgkmcnt(0)
	s_mul_i32 s12, s4, s7
	s_lshl_b64 s[12:13], s[12:13], 2
	s_add_u32 s5, s0, s12
	s_addc_u32 s11, s1, s13
	v_cmp_gt_u32_e32 vcc, s4, v1
	s_and_saveexec_b64 s[0:1], vcc
	s_cbranch_execz .LBB0_13
; %bb.12:
	v_ashrrev_i32_e32 v2, 31, v1
	v_cvt_f32_u32_e32 v6, v3
	v_lshlrev_b64 v[4:5], 2, v[1:2]
	v_mov_b32_e32 v2, s11
	v_add_co_u32_e32 v4, vcc, s5, v4
	v_addc_co_u32_e32 v5, vcc, v2, v5, vcc
	v_mul_f32_e32 v2, 0x2f800000, v6
	global_store_dword v[4:5], v2, off
.LBB0_13:
	s_or_b64 exec, exec, s[0:1]
	v_add_u32_e32 v1, s9, v1
	v_cmp_gt_u32_e32 vcc, s4, v1
	s_and_saveexec_b64 s[0:1], vcc
	s_cbranch_execz .LBB0_16
; %bb.14:
	s_lshl_b32 s0, s10, 2
	s_add_i32 s0, s0, -8
	v_mov_b32_e32 v1, s0
	ds_read_b32 v4, v1
	s_add_i32 s6, s6, s2
	s_add_i32 s7, s9, -1
	s_mul_i32 s6, s6, s3
	s_mov_b64 s[2:3], 0
	v_mov_b32_e32 v2, 0
	v_mov_b32_e32 v5, s11
.LBB0_15:                               ; =>This Inner Loop Header: Depth=1
	v_add_u32_e32 v6, s8, v0
	v_add_u32_e32 v1, s6, v0
	v_or_b32_e32 v8, s7, v6
	v_lshlrev_b64 v[6:7], 2, v[1:2]
	v_not_b32_e32 v1, v8
	v_ffbl_b32_e32 v1, v1
	v_add_u32_e32 v1, 1, v1
	v_cmp_ne_u32_e32 vcc, -1, v8
	v_cndmask_b32_e32 v1, 0, v1, vcc
	v_lshl_add_u32 v1, v1, 2, -4
	ds_read_b32 v1, v1
	s_waitcnt lgkmcnt(1)
	v_xor_b32_e32 v3, v3, v4
	v_add_u32_e32 v0, s9, v0
	v_add_u32_e32 v8, s6, v0
	v_cmp_le_u32_e32 vcc, s4, v8
	s_waitcnt lgkmcnt(0)
	v_xor_b32_e32 v3, v3, v1
	v_cvt_f32_u32_e32 v1, v3
	v_add_co_u32_e64 v6, s[0:1], s5, v6
	v_addc_co_u32_e64 v7, s[0:1], v5, v7, s[0:1]
	s_or_b64 s[2:3], vcc, s[2:3]
	v_mul_f32_e32 v1, 0x2f800000, v1
	global_store_dword v[6:7], v1, off
	s_andn2_b64 exec, exec, s[2:3]
	s_cbranch_execnz .LBB0_15
.LBB0_16:
	s_endpgm
	.section	.rodata,"a",@progbits
	.p2align	6, 0x0
	.amdhsa_kernel _Z15sobolGPU_kerneljjPjPf
		.amdhsa_group_segment_fixed_size 128
		.amdhsa_private_segment_fixed_size 0
		.amdhsa_kernarg_size 280
		.amdhsa_user_sgpr_count 6
		.amdhsa_user_sgpr_private_segment_buffer 1
		.amdhsa_user_sgpr_dispatch_ptr 0
		.amdhsa_user_sgpr_queue_ptr 0
		.amdhsa_user_sgpr_kernarg_segment_ptr 1
		.amdhsa_user_sgpr_dispatch_id 0
		.amdhsa_user_sgpr_flat_scratch_init 0
		.amdhsa_user_sgpr_private_segment_size 0
		.amdhsa_uses_dynamic_stack 0
		.amdhsa_system_sgpr_private_segment_wavefront_offset 0
		.amdhsa_system_sgpr_workgroup_id_x 1
		.amdhsa_system_sgpr_workgroup_id_y 1
		.amdhsa_system_sgpr_workgroup_id_z 0
		.amdhsa_system_sgpr_workgroup_info 0
		.amdhsa_system_vgpr_workitem_id 0
		.amdhsa_next_free_vgpr 20
		.amdhsa_next_free_sgpr 15
		.amdhsa_reserve_vcc 1
		.amdhsa_reserve_flat_scratch 0
		.amdhsa_float_round_mode_32 0
		.amdhsa_float_round_mode_16_64 0
		.amdhsa_float_denorm_mode_32 3
		.amdhsa_float_denorm_mode_16_64 3
		.amdhsa_dx10_clamp 1
		.amdhsa_ieee_mode 1
		.amdhsa_fp16_overflow 0
		.amdhsa_exception_fp_ieee_invalid_op 0
		.amdhsa_exception_fp_denorm_src 0
		.amdhsa_exception_fp_ieee_div_zero 0
		.amdhsa_exception_fp_ieee_overflow 0
		.amdhsa_exception_fp_ieee_underflow 0
		.amdhsa_exception_fp_ieee_inexact 0
		.amdhsa_exception_int_div_zero 0
	.end_amdhsa_kernel
	.text
.Lfunc_end0:
	.size	_Z15sobolGPU_kerneljjPjPf, .Lfunc_end0-_Z15sobolGPU_kerneljjPjPf
                                        ; -- End function
	.set _Z15sobolGPU_kerneljjPjPf.num_vgpr, 20
	.set _Z15sobolGPU_kerneljjPjPf.num_agpr, 0
	.set _Z15sobolGPU_kerneljjPjPf.numbered_sgpr, 15
	.set _Z15sobolGPU_kerneljjPjPf.num_named_barrier, 0
	.set _Z15sobolGPU_kerneljjPjPf.private_seg_size, 0
	.set _Z15sobolGPU_kerneljjPjPf.uses_vcc, 1
	.set _Z15sobolGPU_kerneljjPjPf.uses_flat_scratch, 0
	.set _Z15sobolGPU_kerneljjPjPf.has_dyn_sized_stack, 0
	.set _Z15sobolGPU_kerneljjPjPf.has_recursion, 0
	.set _Z15sobolGPU_kerneljjPjPf.has_indirect_call, 0
	.section	.AMDGPU.csdata,"",@progbits
; Kernel info:
; codeLenInByte = 760
; TotalNumSgprs: 19
; NumVgprs: 20
; ScratchSize: 0
; MemoryBound: 0
; FloatMode: 240
; IeeeMode: 1
; LDSByteSize: 128 bytes/workgroup (compile time only)
; SGPRBlocks: 2
; VGPRBlocks: 4
; NumSGPRsForWavesPerEU: 19
; NumVGPRsForWavesPerEU: 20
; Occupancy: 10
; WaveLimiterHint : 0
; COMPUTE_PGM_RSRC2:SCRATCH_EN: 0
; COMPUTE_PGM_RSRC2:USER_SGPR: 6
; COMPUTE_PGM_RSRC2:TRAP_HANDLER: 0
; COMPUTE_PGM_RSRC2:TGID_X_EN: 1
; COMPUTE_PGM_RSRC2:TGID_Y_EN: 1
; COMPUTE_PGM_RSRC2:TGID_Z_EN: 0
; COMPUTE_PGM_RSRC2:TIDIG_COMP_CNT: 0
	.section	.AMDGPU.gpr_maximums,"",@progbits
	.set amdgpu.max_num_vgpr, 0
	.set amdgpu.max_num_agpr, 0
	.set amdgpu.max_num_sgpr, 0
	.section	.AMDGPU.csdata,"",@progbits
	.type	__hip_cuid_4ed67fbaca2a98c4,@object ; @__hip_cuid_4ed67fbaca2a98c4
	.section	.bss,"aw",@nobits
	.globl	__hip_cuid_4ed67fbaca2a98c4
__hip_cuid_4ed67fbaca2a98c4:
	.byte	0                               ; 0x0
	.size	__hip_cuid_4ed67fbaca2a98c4, 1

	.ident	"AMD clang version 22.0.0git (https://github.com/RadeonOpenCompute/llvm-project roc-7.2.4 26084 f58b06dce1f9c15707c5f808fd002e18c2accf7e)"
	.section	".note.GNU-stack","",@progbits
	.addrsig
	.addrsig_sym __hip_cuid_4ed67fbaca2a98c4
	.amdgpu_metadata
---
amdhsa.kernels:
  - .args:
      - .offset:         0
        .size:           4
        .value_kind:     by_value
      - .offset:         4
        .size:           4
        .value_kind:     by_value
      - .actual_access:  read_only
        .address_space:  global
        .offset:         8
        .size:           8
        .value_kind:     global_buffer
      - .actual_access:  write_only
        .address_space:  global
        .offset:         16
        .size:           8
        .value_kind:     global_buffer
      - .offset:         24
        .size:           4
        .value_kind:     hidden_block_count_x
      - .offset:         28
        .size:           4
        .value_kind:     hidden_block_count_y
      - .offset:         32
        .size:           4
        .value_kind:     hidden_block_count_z
      - .offset:         36
        .size:           2
        .value_kind:     hidden_group_size_x
      - .offset:         38
        .size:           2
        .value_kind:     hidden_group_size_y
      - .offset:         40
        .size:           2
        .value_kind:     hidden_group_size_z
      - .offset:         42
        .size:           2
        .value_kind:     hidden_remainder_x
      - .offset:         44
        .size:           2
        .value_kind:     hidden_remainder_y
      - .offset:         46
        .size:           2
        .value_kind:     hidden_remainder_z
      - .offset:         64
        .size:           8
        .value_kind:     hidden_global_offset_x
      - .offset:         72
        .size:           8
        .value_kind:     hidden_global_offset_y
      - .offset:         80
        .size:           8
        .value_kind:     hidden_global_offset_z
      - .offset:         88
        .size:           2
        .value_kind:     hidden_grid_dims
    .group_segment_fixed_size: 128
    .kernarg_segment_align: 8
    .kernarg_segment_size: 280
    .language:       OpenCL C
    .language_version:
      - 2
      - 0
    .max_flat_workgroup_size: 1024
    .name:           _Z15sobolGPU_kerneljjPjPf
    .private_segment_fixed_size: 0
    .sgpr_count:     19
    .sgpr_spill_count: 0
    .symbol:         _Z15sobolGPU_kerneljjPjPf.kd
    .uniform_work_group_size: 1
    .uses_dynamic_stack: false
    .vgpr_count:     20
    .vgpr_spill_count: 0
    .wavefront_size: 64
amdhsa.target:   amdgcn-amd-amdhsa--gfx906
amdhsa.version:
  - 1
  - 2
...

	.end_amdgpu_metadata
